;; amdgpu-corpus repo=ROCm/rocFFT kind=compiled arch=gfx1030 opt=O3
	.text
	.amdgcn_target "amdgcn-amd-amdhsa--gfx1030"
	.amdhsa_code_object_version 6
	.protected	bluestein_single_back_len350_dim1_dp_op_CI_CI ; -- Begin function bluestein_single_back_len350_dim1_dp_op_CI_CI
	.globl	bluestein_single_back_len350_dim1_dp_op_CI_CI
	.p2align	8
	.type	bluestein_single_back_len350_dim1_dp_op_CI_CI,@function
bluestein_single_back_len350_dim1_dp_op_CI_CI: ; @bluestein_single_back_len350_dim1_dp_op_CI_CI
; %bb.0:
	s_load_dwordx4 s[12:15], s[4:5], 0x28
	v_mul_u32_u24_e32 v1, 0x51f, v0
	v_mov_b32_e32 v125, 0
	s_mov_b32 s0, exec_lo
	v_lshrrev_b32_e32 v1, 16, v1
	v_add_nc_u32_e32 v124, s6, v1
	s_waitcnt lgkmcnt(0)
	v_cmpx_gt_u64_e64 s[12:13], v[124:125]
	s_cbranch_execz .LBB0_23
; %bb.1:
	s_clause 0x1
	s_load_dwordx4 s[8:11], s[4:5], 0x18
	s_load_dwordx2 s[6:7], s[4:5], 0x0
	v_mul_lo_u16 v1, v1, 50
	v_sub_nc_u16 v62, v0, v1
	v_and_b32_e32 v148, 0xffff, v62
	v_lshlrev_b32_e32 v147, 4, v148
	s_waitcnt lgkmcnt(0)
	s_load_dwordx4 s[0:3], s[8:9], 0x0
	s_waitcnt lgkmcnt(0)
	v_mad_u64_u32 v[8:9], null, s2, v124, 0
	v_mad_u64_u32 v[10:11], null, s0, v148, 0
	v_add_co_u32 v120, s2, s6, v147
	v_add_co_ci_u32_e64 v121, null, s7, 0, s2
	v_mov_b32_e32 v0, v9
	v_add_co_u32 v122, vcc_lo, 0x800, v120
	v_mov_b32_e32 v1, v11
	v_add_co_ci_u32_e32 v123, vcc_lo, 0, v121, vcc_lo
	s_mul_i32 s2, s0, 0x46
	v_mad_u64_u32 v[11:12], null, s3, v124, v[0:1]
	v_mad_u64_u32 v[12:13], null, s1, v148, v[1:2]
	s_clause 0x1
	global_load_dwordx4 v[0:3], v147, s[6:7]
	global_load_dwordx4 v[4:7], v147, s[6:7] offset:1120
	s_mul_i32 s3, s1, 0x46
	s_mul_hi_u32 s6, s0, 0x46
	v_mov_b32_e32 v9, v11
	s_add_i32 s3, s6, s3
	v_mov_b32_e32 v11, v12
	s_lshl_b64 s[6:7], s[2:3], 4
	v_lshlrev_b64 v[8:9], 4, v[8:9]
	v_lshlrev_b64 v[10:11], 4, v[10:11]
	v_add_co_u32 v8, vcc_lo, s14, v8
	v_add_co_ci_u32_e32 v9, vcc_lo, s15, v9, vcc_lo
	v_add_co_u32 v8, vcc_lo, v8, v10
	v_add_co_ci_u32_e32 v9, vcc_lo, v9, v11, vcc_lo
	;; [unrolled: 2-line block ×5, first 2 shown]
	s_clause 0x1
	global_load_dwordx4 v[22:25], v[8:9], off
	global_load_dwordx4 v[26:29], v[10:11], off
	v_add_co_u32 v16, vcc_lo, v12, s6
	v_add_co_ci_u32_e32 v17, vcc_lo, s7, v13, vcc_lo
	global_load_dwordx4 v[30:33], v[12:13], off
	v_add_co_u32 v20, vcc_lo, v16, s6
	v_add_co_ci_u32_e32 v21, vcc_lo, s7, v17, vcc_lo
	s_clause 0x1
	global_load_dwordx4 v[12:15], v[122:123], off offset:192
	global_load_dwordx4 v[8:11], v[122:123], off offset:1312
	global_load_dwordx4 v[34:37], v[16:17], off
	global_load_dwordx4 v[16:19], v[125:126], off offset:384
	global_load_dwordx4 v[38:41], v[20:21], off
	s_load_dwordx2 s[2:3], s[4:5], 0x38
	s_load_dwordx4 s[8:11], s[10:11], 0x0
	v_cmp_gt_u16_e32 vcc_lo, 20, v62
	s_waitcnt vmcnt(7)
	v_mul_f64 v[42:43], v[24:25], v[2:3]
	v_mul_f64 v[44:45], v[22:23], v[2:3]
	s_waitcnt vmcnt(6)
	v_mul_f64 v[46:47], v[28:29], v[6:7]
	v_mul_f64 v[48:49], v[26:27], v[6:7]
	;; [unrolled: 3-line block ×5, first 2 shown]
	v_fma_f64 v[22:23], v[22:23], v[0:1], v[42:43]
	v_fma_f64 v[24:25], v[24:25], v[0:1], -v[44:45]
	v_fma_f64 v[26:27], v[26:27], v[4:5], v[46:47]
	v_fma_f64 v[28:29], v[28:29], v[4:5], -v[48:49]
	;; [unrolled: 2-line block ×5, first 2 shown]
	ds_write_b128 v147, v[22:25]
	ds_write_b128 v147, v[26:29] offset:1120
	ds_write_b128 v147, v[30:33] offset:2240
	;; [unrolled: 1-line block ×4, first 2 shown]
	s_and_saveexec_b32 s12, vcc_lo
	s_cbranch_execz .LBB0_3
; %bb.2:
	v_mad_u64_u32 v[28:29], null, 0xfffff1a0, s0, v[20:21]
	s_mulk_i32 s1, 0xf1a0
	s_clause 0x1
	global_load_dwordx4 v[20:23], v[120:121], off offset:800
	global_load_dwordx4 v[24:27], v[120:121], off offset:1920
	s_sub_i32 s0, s1, s0
	v_add_nc_u32_e32 v29, s0, v29
	v_add_co_u32 v32, s0, v28, s6
	v_add_co_ci_u32_e64 v33, s0, s7, v29, s0
	v_add_co_u32 v36, s0, v32, s6
	global_load_dwordx4 v[28:31], v[28:29], off
	v_add_co_ci_u32_e64 v37, s0, s7, v33, s0
	v_add_co_u32 v48, s0, v36, s6
	global_load_dwordx4 v[32:35], v[32:33], off
	;; [unrolled: 3-line block ×3, first 2 shown]
	v_add_co_ci_u32_e64 v57, s0, s7, v49, s0
	s_clause 0x1
	global_load_dwordx4 v[40:43], v[122:123], off offset:992
	global_load_dwordx4 v[44:47], v[125:126], off offset:64
	global_load_dwordx4 v[48:51], v[48:49], off
	global_load_dwordx4 v[52:55], v[125:126], off offset:1184
	global_load_dwordx4 v[56:59], v[56:57], off
	s_waitcnt vmcnt(7)
	v_mul_f64 v[60:61], v[30:31], v[22:23]
	v_mul_f64 v[22:23], v[28:29], v[22:23]
	s_waitcnt vmcnt(6)
	v_mul_f64 v[62:63], v[34:35], v[26:27]
	v_mul_f64 v[64:65], v[32:33], v[26:27]
	;; [unrolled: 3-line block ×5, first 2 shown]
	v_fma_f64 v[26:27], v[28:29], v[20:21], v[60:61]
	v_fma_f64 v[28:29], v[30:31], v[20:21], -v[22:23]
	v_fma_f64 v[20:21], v[32:33], v[24:25], v[62:63]
	v_fma_f64 v[22:23], v[34:35], v[24:25], -v[64:65]
	;; [unrolled: 2-line block ×5, first 2 shown]
	ds_write_b128 v147, v[26:29] offset:800
	ds_write_b128 v147, v[20:23] offset:1920
	;; [unrolled: 1-line block ×5, first 2 shown]
.LBB0_3:
	s_or_b32 exec_lo, exec_lo, s12
	s_waitcnt lgkmcnt(0)
	s_barrier
	buffer_gl0_inv
	ds_read_b128 v[56:59], v147
	ds_read_b128 v[52:55], v147 offset:1120
	ds_read_b128 v[48:51], v147 offset:2240
	;; [unrolled: 1-line block ×4, first 2 shown]
	s_load_dwordx2 s[4:5], s[4:5], 0x8
                                        ; implicit-def: $vgpr20_vgpr21
                                        ; implicit-def: $vgpr24_vgpr25
                                        ; implicit-def: $vgpr28_vgpr29
                                        ; implicit-def: $vgpr32_vgpr33
                                        ; implicit-def: $vgpr36_vgpr37
	s_and_saveexec_b32 s0, vcc_lo
	s_cbranch_execz .LBB0_5
; %bb.4:
	ds_read_b128 v[20:23], v147 offset:800
	ds_read_b128 v[24:27], v147 offset:1920
	;; [unrolled: 1-line block ×5, first 2 shown]
.LBB0_5:
	s_or_b32 exec_lo, exec_lo, s0
	s_waitcnt lgkmcnt(0)
	v_add_f64 v[60:61], v[48:49], v[44:45]
	v_add_f64 v[62:63], v[52:53], v[40:41]
	v_add_f64 v[64:65], v[50:51], v[46:47]
	v_add_f64 v[66:67], v[54:55], v[42:43]
	v_add_f64 v[68:69], v[56:57], v[52:53]
	v_add_f64 v[76:77], v[28:29], v[32:33]
	v_add_f64 v[78:79], v[24:25], v[36:37]
	v_add_f64 v[86:87], v[30:31], v[34:35]
	v_add_f64 v[88:89], v[26:27], v[38:39]
	v_add_f64 v[70:71], v[54:55], -v[42:43]
	v_add_f64 v[72:73], v[50:51], -v[46:47]
	v_add_f64 v[74:75], v[52:53], -v[48:49]
	v_add_f64 v[80:81], v[40:41], -v[44:45]
	v_add_f64 v[82:83], v[58:59], v[54:55]
	v_add_f64 v[84:85], v[48:49], -v[52:53]
	v_add_f64 v[90:91], v[52:53], -v[40:41]
	v_add_f64 v[94:95], v[48:49], -v[44:45]
	v_add_f64 v[96:97], v[44:45], -v[40:41]
	v_add_f64 v[98:99], v[54:55], -v[50:51]
	v_add_f64 v[102:103], v[50:51], -v[54:55]
	v_add_f64 v[52:53], v[26:27], -v[38:39]
	v_add_f64 v[54:55], v[30:31], -v[34:35]
	v_fma_f64 v[92:93], v[60:61], -0.5, v[56:57]
	v_fma_f64 v[62:63], v[62:63], -0.5, v[56:57]
	;; [unrolled: 1-line block ×4, first 2 shown]
	v_add_f64 v[60:61], v[24:25], -v[36:37]
	v_fma_f64 v[56:57], v[76:77], -0.5, v[20:21]
	v_fma_f64 v[76:77], v[78:79], -0.5, v[20:21]
	v_add_f64 v[58:59], v[28:29], -v[32:33]
	v_add_f64 v[68:69], v[68:69], v[48:49]
	v_fma_f64 v[48:49], v[86:87], -0.5, v[22:23]
	v_fma_f64 v[86:87], v[88:89], -0.5, v[22:23]
	s_mov_b32 s0, 0x134454ff
	s_mov_b32 s1, 0x3fee6f0e
	;; [unrolled: 1-line block ×4, first 2 shown]
	v_add_f64 v[100:101], v[42:43], -v[46:47]
	v_add_f64 v[104:105], v[46:47], -v[42:43]
	;; [unrolled: 1-line block ×3, first 2 shown]
	v_add_f64 v[50:51], v[82:83], v[50:51]
	v_add_f64 v[110:111], v[36:37], -v[32:33]
	v_add_f64 v[74:75], v[74:75], v[80:81]
	v_add_f64 v[80:81], v[84:85], v[96:97]
	v_fma_f64 v[82:83], v[70:71], s[0:1], v[92:93]
	v_fma_f64 v[88:89], v[70:71], s[14:15], v[92:93]
	;; [unrolled: 1-line block ×9, first 2 shown]
	v_add_f64 v[112:113], v[28:29], -v[24:25]
	v_add_f64 v[114:115], v[32:33], -v[36:37]
	v_fma_f64 v[76:77], v[54:55], s[0:1], v[76:77]
	v_add_f64 v[116:117], v[26:27], -v[30:31]
	v_add_f64 v[118:119], v[38:39], -v[34:35]
	v_fma_f64 v[127:128], v[60:61], s[0:1], v[48:49]
	v_fma_f64 v[129:130], v[58:59], s[0:1], v[86:87]
	v_add_f64 v[131:132], v[30:31], -v[26:27]
	v_add_f64 v[133:134], v[34:35], -v[38:39]
	v_fma_f64 v[86:87], v[58:59], s[14:15], v[86:87]
	v_fma_f64 v[64:65], v[90:91], s[0:1], v[64:65]
	s_mov_b32 s6, 0x4755a5e
	s_mov_b32 s7, 0x3fe2cf23
	s_mov_b32 s13, 0xbfe2cf23
	s_mov_b32 s12, s6
	v_add_f64 v[98:99], v[98:99], v[100:101]
	v_add_f64 v[100:101], v[102:103], v[104:105]
	v_add_f64 v[68:69], v[68:69], v[44:45]
	v_add_f64 v[50:51], v[50:51], v[46:47]
	v_fma_f64 v[82:83], v[72:73], s[6:7], v[82:83]
	v_fma_f64 v[72:73], v[72:73], s[12:13], v[88:89]
	;; [unrolled: 1-line block ×7, first 2 shown]
	v_add_f64 v[44:45], v[78:79], v[110:111]
	v_fma_f64 v[78:79], v[54:55], s[12:13], v[84:85]
	v_fma_f64 v[84:85], v[52:53], s[6:7], v[96:97]
	v_add_f64 v[96:97], v[112:113], v[114:115]
	v_fma_f64 v[106:107], v[52:53], s[12:13], v[76:77]
	v_add_f64 v[46:47], v[116:117], v[118:119]
	v_fma_f64 v[108:109], v[58:59], s[6:7], v[127:128]
	v_fma_f64 v[110:111], v[60:61], s[12:13], v[129:130]
	v_add_f64 v[112:113], v[131:132], v[133:134]
	v_fma_f64 v[114:115], v[60:61], s[6:7], v[86:87]
	v_fma_f64 v[94:95], v[94:95], s[6:7], v[64:65]
	s_mov_b32 s12, 0x372fe950
	s_mov_b32 s13, 0x3fd3c6ef
	v_add_f64 v[40:41], v[68:69], v[40:41]
	v_add_f64 v[42:43], v[50:51], v[42:43]
	v_fma_f64 v[62:63], v[74:75], s[12:13], v[82:83]
	v_fma_f64 v[66:67], v[74:75], s[12:13], v[72:73]
	v_fma_f64 v[70:71], v[80:81], s[12:13], v[88:89]
	v_fma_f64 v[74:75], v[80:81], s[12:13], v[92:93]
	v_fma_f64 v[64:65], v[98:99], s[12:13], v[102:103]
	v_fma_f64 v[72:73], v[100:101], s[12:13], v[104:105]
	v_fma_f64 v[76:77], v[100:101], s[12:13], v[90:91]
	v_mul_lo_u16 v50, v148, 5
	v_fma_f64 v[88:89], v[44:45], s[12:13], v[78:79]
	v_mov_b32_e32 v51, 4
	v_fma_f64 v[84:85], v[96:97], s[12:13], v[84:85]
	v_fma_f64 v[80:81], v[96:97], s[12:13], v[106:107]
	;; [unrolled: 1-line block ×3, first 2 shown]
	v_lshlrev_b32_sdwa v150, v51, v50 dst_sel:DWORD dst_unused:UNUSED_PAD src0_sel:DWORD src1_sel:WORD_0
	v_fma_f64 v[86:87], v[112:113], s[12:13], v[110:111]
	v_fma_f64 v[82:83], v[112:113], s[12:13], v[114:115]
	;; [unrolled: 1-line block ×3, first 2 shown]
	v_add_co_u32 v50, null, v148, 50
	s_barrier
	buffer_gl0_inv
	ds_write_b128 v150, v[40:43]
	v_mul_u32_u24_e32 v149, 5, v50
	ds_write_b128 v150, v[62:65] offset:16
	ds_write_b128 v150, v[70:73] offset:32
	;; [unrolled: 1-line block ×4, first 2 shown]
	s_and_saveexec_b32 s14, vcc_lo
	s_cbranch_execz .LBB0_7
; %bb.6:
	v_add_f64 v[22:23], v[22:23], v[26:27]
	v_add_f64 v[20:21], v[20:21], v[24:25]
	v_mul_f64 v[40:41], v[60:61], s[0:1]
	v_mul_f64 v[24:25], v[52:53], s[0:1]
	;; [unrolled: 1-line block ×4, first 2 shown]
	v_add_f64 v[22:23], v[22:23], v[30:31]
	v_add_f64 v[20:21], v[20:21], v[28:29]
	v_add_f64 v[40:41], v[48:49], -v[40:41]
	v_add_f64 v[24:25], v[56:57], v[24:25]
	v_mul_f64 v[28:29], v[44:45], s[12:13]
	v_mul_f64 v[30:31], v[46:47], s[12:13]
	v_add_f64 v[34:35], v[22:23], v[34:35]
	v_add_f64 v[20:21], v[20:21], v[32:33]
	v_add_f64 v[40:41], v[40:41], -v[42:43]
	v_add_f64 v[32:33], v[26:27], v[24:25]
	v_add_f64 v[26:27], v[34:35], v[38:39]
	;; [unrolled: 1-line block ×5, first 2 shown]
	v_lshlrev_b32_e32 v28, 4, v149
	ds_write_b128 v28, v[84:87] offset:32
	ds_write_b128 v28, v[80:83] offset:48
	ds_write_b128 v28, v[24:27]
	ds_write_b128 v28, v[20:23] offset:16
	ds_write_b128 v28, v[88:91] offset:64
.LBB0_7:
	s_or_b32 exec_lo, exec_lo, s14
	v_and_b32_e32 v20, 0xff, v148
	s_waitcnt lgkmcnt(0)
	s_barrier
	buffer_gl0_inv
	s_mov_b32 s0, 0x37e14327
	v_mul_lo_u16 v20, 0xcd, v20
	s_mov_b32 s1, 0x3fe948f6
	s_mov_b32 s6, 0x36b3c0b5
	s_mov_b32 s12, 0xe976ee23
	s_mov_b32 s7, 0x3fac98ee
	v_lshrrev_b16 v127, 10, v20
	s_mov_b32 s13, 0xbfe11646
	s_mov_b32 s15, 0x3fe77f67
	;; [unrolled: 1-line block ×4, first 2 shown]
	v_mul_lo_u16 v20, v127, 5
	s_mov_b32 s16, 0xb247c609
	v_sub_nc_u16 v20, v148, v20
	v_and_b32_e32 v128, 0xff, v20
	v_mul_u32_u24_e32 v20, 6, v128
	v_lshlrev_b32_e32 v28, 4, v20
	s_clause 0x5
	global_load_dwordx4 v[24:27], v28, s[4:5]
	global_load_dwordx4 v[20:23], v28, s[4:5] offset:16
	global_load_dwordx4 v[32:35], v28, s[4:5] offset:80
	;; [unrolled: 1-line block ×5, first 2 shown]
	ds_read_b128 v[28:31], v147 offset:800
	ds_read_b128 v[48:51], v147 offset:1600
	;; [unrolled: 1-line block ×6, first 2 shown]
	s_waitcnt vmcnt(5) lgkmcnt(5)
	v_mul_f64 v[68:69], v[30:31], v[26:27]
	v_mul_f64 v[70:71], v[28:29], v[26:27]
	s_waitcnt vmcnt(4) lgkmcnt(4)
	v_mul_f64 v[72:73], v[50:51], v[22:23]
	v_mul_f64 v[74:75], v[48:49], v[22:23]
	;; [unrolled: 3-line block ×6, first 2 shown]
	v_fma_f64 v[28:29], v[28:29], v[24:25], -v[68:69]
	v_fma_f64 v[30:31], v[30:31], v[24:25], v[70:71]
	v_fma_f64 v[48:49], v[48:49], v[20:21], -v[72:73]
	v_fma_f64 v[50:51], v[50:51], v[20:21], v[74:75]
	v_fma_f64 v[52:53], v[52:53], v[32:33], -v[76:77]
	v_fma_f64 v[54:55], v[54:55], v[32:33], v[78:79]
	v_fma_f64 v[56:57], v[56:57], v[44:45], -v[92:93]
	v_fma_f64 v[58:59], v[58:59], v[44:45], v[94:95]
	v_fma_f64 v[60:61], v[60:61], v[40:41], -v[96:97]
	v_fma_f64 v[62:63], v[62:63], v[40:41], v[98:99]
	v_fma_f64 v[64:65], v[64:65], v[36:37], -v[100:101]
	v_fma_f64 v[66:67], v[66:67], v[36:37], v[102:103]
	v_add_f64 v[68:69], v[28:29], v[52:53]
	v_add_f64 v[70:71], v[30:31], v[54:55]
	v_add_f64 v[72:73], v[48:49], v[56:57]
	v_add_f64 v[74:75], v[50:51], v[58:59]
	v_add_f64 v[48:49], v[48:49], -v[56:57]
	v_add_f64 v[50:51], v[50:51], -v[58:59]
	v_add_f64 v[76:77], v[60:61], v[64:65]
	v_add_f64 v[78:79], v[62:63], v[66:67]
	v_add_f64 v[56:57], v[64:65], -v[60:61]
	v_add_f64 v[58:59], v[66:67], -v[62:63]
	v_add_f64 v[52:53], v[28:29], -v[52:53]
	v_add_f64 v[54:55], v[30:31], -v[54:55]
	ds_read_b128 v[28:31], v147
	s_waitcnt lgkmcnt(0)
	s_barrier
	buffer_gl0_inv
	v_add_f64 v[60:61], v[72:73], v[68:69]
	v_add_f64 v[62:63], v[74:75], v[70:71]
	v_add_f64 v[64:65], v[68:69], -v[76:77]
	v_add_f64 v[66:67], v[70:71], -v[78:79]
	v_add_f64 v[96:97], v[76:77], -v[72:73]
	v_add_f64 v[98:99], v[78:79], -v[74:75]
	v_add_f64 v[92:93], v[56:57], -v[48:49]
	v_add_f64 v[94:95], v[58:59], -v[50:51]
	v_add_f64 v[100:101], v[48:49], -v[52:53]
	v_add_f64 v[102:103], v[50:51], -v[54:55]
	v_add_f64 v[68:69], v[72:73], -v[68:69]
	v_add_f64 v[70:71], v[74:75], -v[70:71]
	v_add_f64 v[48:49], v[56:57], v[48:49]
	v_add_f64 v[50:51], v[58:59], v[50:51]
	v_add_f64 v[56:57], v[52:53], -v[56:57]
	v_add_f64 v[58:59], v[54:55], -v[58:59]
	v_add_f64 v[60:61], v[76:77], v[60:61]
	v_add_f64 v[62:63], v[78:79], v[62:63]
	v_mul_f64 v[64:65], v[64:65], s[0:1]
	v_mul_f64 v[66:67], v[66:67], s[0:1]
	s_mov_b32 s0, 0x429ad128
	v_mul_f64 v[72:73], v[96:97], s[6:7]
	v_mul_f64 v[74:75], v[98:99], s[6:7]
	;; [unrolled: 1-line block ×4, first 2 shown]
	s_mov_b32 s1, 0x3febfeb5
	s_mov_b32 s12, 0xaaaaaaaa
	v_mul_f64 v[104:105], v[100:101], s[0:1]
	v_mul_f64 v[106:107], v[102:103], s[0:1]
	s_mov_b32 s13, 0xbff2aaaa
	v_add_f64 v[92:93], v[28:29], v[60:61]
	v_add_f64 v[94:95], v[30:31], v[62:63]
	v_add_f64 v[28:29], v[48:49], v[52:53]
	v_add_f64 v[30:31], v[50:51], v[54:55]
	v_fma_f64 v[48:49], v[96:97], s[6:7], v[64:65]
	v_fma_f64 v[50:51], v[98:99], s[6:7], v[66:67]
	v_fma_f64 v[52:53], v[68:69], s[14:15], -v[72:73]
	v_fma_f64 v[54:55], v[70:71], s[14:15], -v[74:75]
	s_mov_b32 s15, 0xbfe77f67
	v_fma_f64 v[72:73], v[56:57], s[16:17], v[76:77]
	v_fma_f64 v[74:75], v[58:59], s[16:17], v[78:79]
	s_mov_b32 s17, 0xbfd5d0dc
	v_fma_f64 v[76:77], v[100:101], s[0:1], -v[76:77]
	v_fma_f64 v[78:79], v[102:103], s[0:1], -v[78:79]
	;; [unrolled: 1-line block ×6, first 2 shown]
	s_mov_b32 s0, 0x37c3f68c
	s_mov_b32 s1, 0x3fdc38aa
	v_fma_f64 v[60:61], v[60:61], s[12:13], v[92:93]
	v_fma_f64 v[62:63], v[62:63], s[12:13], v[94:95]
	;; [unrolled: 1-line block ×8, first 2 shown]
	v_cmp_gt_u16_e64 s0, 35, v148
	v_add_f64 v[48:49], v[48:49], v[60:61]
	v_add_f64 v[50:51], v[50:51], v[62:63]
	;; [unrolled: 1-line block ×7, first 2 shown]
	v_add_f64 v[98:99], v[50:51], -v[68:69]
	v_add_f64 v[104:105], v[30:31], v[56:57]
	v_add_f64 v[106:107], v[58:59], -v[28:29]
	v_add_f64 v[108:109], v[52:53], -v[74:75]
	v_add_f64 v[110:111], v[72:73], v[54:55]
	v_add_f64 v[112:113], v[74:75], v[52:53]
	v_add_f64 v[114:115], v[54:55], -v[72:73]
	v_add_f64 v[116:117], v[56:57], -v[30:31]
	v_add_f64 v[118:119], v[28:29], v[58:59]
	v_add_f64 v[100:101], v[48:49], -v[70:71]
	v_add_f64 v[102:103], v[68:69], v[50:51]
	v_mov_b32_e32 v28, 35
	v_mul_u32_u24_sdwa v28, v127, v28 dst_sel:DWORD dst_unused:UNUSED_PAD src0_sel:WORD_0 src1_sel:DWORD
	v_add_lshl_u32 v151, v28, v128, 4
	ds_write_b128 v151, v[92:95]
	ds_write_b128 v151, v[96:99] offset:80
	ds_write_b128 v151, v[104:107] offset:160
	;; [unrolled: 1-line block ×6, first 2 shown]
	s_waitcnt lgkmcnt(0)
	s_barrier
	buffer_gl0_inv
	s_and_saveexec_b32 s1, s0
	s_cbranch_execz .LBB0_9
; %bb.8:
	ds_read_b128 v[92:95], v147
	ds_read_b128 v[96:99], v147 offset:560
	ds_read_b128 v[104:107], v147 offset:1120
	;; [unrolled: 1-line block ×9, first 2 shown]
.LBB0_9:
	s_or_b32 exec_lo, exec_lo, s1
	v_subrev_nc_u32_e32 v28, 35, v148
	s_mov_b32 s13, 0xbfee6f0e
	s_mov_b32 s16, 0x4755a5e
	;; [unrolled: 1-line block ×4, first 2 shown]
	v_cndmask_b32_e64 v28, v28, v148, s0
	s_mov_b32 s14, s16
	s_mov_b32 s6, 0x372fe950
	;; [unrolled: 1-line block ×4, first 2 shown]
	v_mul_i32_i24_e32 v29, 0x90, v28
	v_mul_hi_i32_i24_e32 v28, 0x90, v28
	s_mov_b32 s19, 0x3fe9e377
	v_add_co_u32 v68, s1, s4, v29
	v_add_co_ci_u32_e64 v69, s1, s5, v28, s1
	s_mov_b32 s4, 0x134454ff
	s_mov_b32 s5, 0x3fee6f0e
	;; [unrolled: 1-line block ×3, first 2 shown]
	s_clause 0x8
	global_load_dwordx4 v[56:59], v[68:69], off offset:544
	global_load_dwordx4 v[64:67], v[68:69], off offset:512
	global_load_dwordx4 v[60:63], v[68:69], off offset:576
	global_load_dwordx4 v[72:75], v[68:69], off offset:608
	global_load_dwordx4 v[28:31], v[68:69], off offset:480
	global_load_dwordx4 v[76:79], v[68:69], off offset:496
	global_load_dwordx4 v[48:51], v[68:69], off offset:528
	global_load_dwordx4 v[52:55], v[68:69], off offset:560
	global_load_dwordx4 v[68:71], v[68:69], off offset:592
	s_waitcnt vmcnt(8) lgkmcnt(4)
	v_mul_f64 v[127:128], v[118:119], v[58:59]
	s_waitcnt vmcnt(7)
	v_mul_f64 v[129:130], v[110:111], v[66:67]
	v_mul_f64 v[131:132], v[108:109], v[66:67]
	;; [unrolled: 1-line block ×3, first 2 shown]
	s_waitcnt vmcnt(6) lgkmcnt(2)
	v_mul_f64 v[135:136], v[84:85], v[62:63]
	s_waitcnt vmcnt(5) lgkmcnt(0)
	v_mul_f64 v[137:138], v[88:89], v[74:75]
	v_mul_f64 v[139:140], v[90:91], v[74:75]
	;; [unrolled: 1-line block ×3, first 2 shown]
	s_waitcnt vmcnt(4)
	v_mul_f64 v[143:144], v[98:99], v[30:31]
	v_mul_f64 v[145:146], v[96:97], v[30:31]
	s_waitcnt vmcnt(3)
	v_mul_f64 v[152:153], v[106:107], v[78:79]
	v_mul_f64 v[154:155], v[104:105], v[78:79]
	s_waitcnt vmcnt(2)
	v_mul_f64 v[156:157], v[114:115], v[50:51]
	v_mul_f64 v[158:159], v[112:113], v[50:51]
	s_waitcnt vmcnt(1)
	v_mul_f64 v[160:161], v[102:103], v[54:55]
	s_waitcnt vmcnt(0)
	v_mul_f64 v[162:163], v[82:83], v[70:71]
	v_mul_f64 v[164:165], v[100:101], v[54:55]
	;; [unrolled: 1-line block ×3, first 2 shown]
	v_fma_f64 v[116:117], v[116:117], v[56:57], -v[127:128]
	v_fma_f64 v[108:109], v[108:109], v[64:65], -v[129:130]
	v_fma_f64 v[110:111], v[110:111], v[64:65], v[131:132]
	v_fma_f64 v[118:119], v[118:119], v[56:57], v[133:134]
	;; [unrolled: 1-line block ×4, first 2 shown]
	v_fma_f64 v[88:89], v[88:89], v[72:73], -v[139:140]
	v_fma_f64 v[84:85], v[84:85], v[60:61], -v[141:142]
	;; [unrolled: 1-line block ×3, first 2 shown]
	v_fma_f64 v[98:99], v[98:99], v[28:29], v[145:146]
	v_fma_f64 v[104:105], v[104:105], v[76:77], -v[152:153]
	v_fma_f64 v[106:107], v[106:107], v[76:77], v[154:155]
	v_fma_f64 v[112:113], v[112:113], v[48:49], -v[156:157]
	;; [unrolled: 2-line block ×3, first 2 shown]
	v_fma_f64 v[80:81], v[80:81], v[68:69], -v[162:163]
	v_fma_f64 v[102:103], v[102:103], v[52:53], v[164:165]
	v_fma_f64 v[82:83], v[82:83], v[68:69], v[166:167]
	v_add_f64 v[156:157], v[108:109], -v[116:117]
	v_add_f64 v[162:163], v[116:117], -v[108:109]
	;; [unrolled: 1-line block ×3, first 2 shown]
	v_add_f64 v[127:128], v[118:119], v[86:87]
	v_add_f64 v[129:130], v[110:111], v[90:91]
	;; [unrolled: 1-line block ×4, first 2 shown]
	v_add_f64 v[135:136], v[110:111], -v[90:91]
	v_add_f64 v[145:146], v[118:119], -v[86:87]
	;; [unrolled: 1-line block ×6, first 2 shown]
	v_add_f64 v[137:138], v[112:113], v[100:101]
	v_add_f64 v[139:140], v[104:105], v[80:81]
	;; [unrolled: 1-line block ×4, first 2 shown]
	v_add_f64 v[170:171], v[90:91], -v[86:87]
	v_add_f64 v[172:173], v[118:119], -v[110:111]
	;; [unrolled: 1-line block ×3, first 2 shown]
	v_add_f64 v[160:161], v[92:93], v[104:105]
	v_add_f64 v[166:167], v[104:105], -v[112:113]
	v_add_f64 v[176:177], v[112:113], -v[104:105]
	;; [unrolled: 1-line block ×4, first 2 shown]
	v_fma_f64 v[127:128], v[127:128], -0.5, v[98:99]
	v_fma_f64 v[129:130], v[129:130], -0.5, v[98:99]
	;; [unrolled: 1-line block ×4, first 2 shown]
	v_add_f64 v[96:97], v[96:97], v[108:109]
	v_add_f64 v[108:109], v[94:95], v[106:107]
	v_add_f64 v[98:99], v[98:99], v[110:111]
	v_add_f64 v[104:105], v[104:105], -v[80:81]
	v_add_f64 v[192:193], v[112:113], -v[100:101]
	;; [unrolled: 1-line block ×3, first 2 shown]
	v_fma_f64 v[137:138], v[137:138], -0.5, v[92:93]
	v_fma_f64 v[92:93], v[139:140], -0.5, v[92:93]
	;; [unrolled: 1-line block ×4, first 2 shown]
	v_add_f64 v[141:142], v[156:157], v[158:159]
	v_add_f64 v[143:144], v[162:163], v[164:165]
	;; [unrolled: 1-line block ×4, first 2 shown]
	v_add_f64 v[178:179], v[100:101], -v[80:81]
	v_add_f64 v[194:195], v[106:107], -v[114:115]
	;; [unrolled: 1-line block ×4, first 2 shown]
	v_fma_f64 v[184:185], v[152:153], s[12:13], v[127:128]
	v_fma_f64 v[186:187], v[154:155], s[4:5], v[129:130]
	;; [unrolled: 1-line block ×8, first 2 shown]
	v_add_f64 v[198:199], v[102:103], -v[82:83]
	v_add_f64 v[112:113], v[160:161], v[112:113]
	v_add_f64 v[108:109], v[108:109], v[114:115]
	;; [unrolled: 1-line block ×4, first 2 shown]
	v_fma_f64 v[114:115], v[180:181], s[4:5], v[137:138]
	v_fma_f64 v[116:117], v[180:181], s[12:13], v[137:138]
	;; [unrolled: 1-line block ×6, first 2 shown]
	v_add_f64 v[110:111], v[166:167], v[110:111]
	v_fma_f64 v[162:163], v[154:155], s[14:15], v[184:185]
	v_fma_f64 v[164:165], v[152:153], s[14:15], v[186:187]
	;; [unrolled: 1-line block ×10, first 2 shown]
	v_add_f64 v[135:136], v[176:177], v[178:179]
	v_add_f64 v[100:101], v[112:113], v[100:101]
	;; [unrolled: 1-line block ×5, first 2 shown]
	v_fma_f64 v[96:97], v[182:183], s[16:17], v[114:115]
	v_fma_f64 v[98:99], v[182:183], s[14:15], v[116:117]
	;; [unrolled: 1-line block ×14, first 2 shown]
	v_add_f64 v[133:134], v[194:195], v[196:197]
	v_add_f64 v[164:165], v[106:107], v[198:199]
	v_fma_f64 v[116:117], v[104:105], s[14:15], v[145:146]
	v_fma_f64 v[94:95], v[104:105], s[16:17], v[94:95]
	v_add_f64 v[100:101], v[100:101], v[80:81]
	v_add_f64 v[127:128], v[102:103], v[82:83]
	;; [unrolled: 1-line block ×4, first 2 shown]
	v_fma_f64 v[106:107], v[110:111], s[6:7], v[96:97]
	v_fma_f64 v[102:103], v[110:111], s[6:7], v[98:99]
	;; [unrolled: 1-line block ×4, first 2 shown]
	v_mul_f64 v[118:119], v[152:153], s[16:17]
	v_mul_f64 v[145:146], v[154:155], s[4:5]
	;; [unrolled: 1-line block ×8, first 2 shown]
	v_fma_f64 v[131:132], v[133:134], s[6:7], v[112:113]
	v_fma_f64 v[139:140], v[133:134], s[6:7], v[114:115]
	;; [unrolled: 1-line block ×4, first 2 shown]
	v_add_f64 v[80:81], v[100:101], -v[104:105]
	v_add_f64 v[82:83], v[127:128], -v[129:130]
	v_fma_f64 v[112:113], v[141:142], s[18:19], v[118:119]
	v_fma_f64 v[114:115], v[143:144], s[6:7], v[145:146]
	v_fma_f64 v[116:117], v[158:159], s[4:5], -v[166:167]
	v_fma_f64 v[118:119], v[156:157], s[16:17], -v[168:169]
	v_fma_f64 v[135:136], v[152:153], s[18:19], v[170:171]
	v_fma_f64 v[141:142], v[154:155], s[6:7], v[172:173]
	v_fma_f64 v[143:144], v[160:161], s[12:13], -v[174:175]
	v_fma_f64 v[145:146], v[162:163], s[14:15], -v[176:177]
	v_add_f64 v[84:85], v[106:107], -v[112:113]
	v_add_f64 v[88:89], v[108:109], -v[114:115]
	;; [unrolled: 1-line block ×8, first 2 shown]
	s_and_saveexec_b32 s1, s0
	s_cbranch_execz .LBB0_11
; %bb.10:
	v_add_f64 v[129:130], v[127:128], v[129:130]
	v_add_f64 v[127:128], v[100:101], v[104:105]
	;; [unrolled: 1-line block ×10, first 2 shown]
	ds_write_b128 v147, v[80:83] offset:2800
	ds_write_b128 v147, v[84:87] offset:3360
	ds_write_b128 v147, v[88:91] offset:3920
	ds_write_b128 v147, v[92:95] offset:4480
	ds_write_b128 v147, v[127:130]
	ds_write_b128 v147, v[152:155] offset:560
	ds_write_b128 v147, v[131:134] offset:1120
	;; [unrolled: 1-line block ×5, first 2 shown]
.LBB0_11:
	s_or_b32 exec_lo, exec_lo, s1
	v_add_co_u32 v100, s1, 0x15e0, v120
	v_add_co_ci_u32_e64 v101, s1, 0, v121, s1
	v_add_co_u32 v110, s1, 0x1800, v120
	v_add_co_ci_u32_e64 v111, s1, 0, v121, s1
	v_add_co_u32 v118, s1, 0x2000, v120
	s_waitcnt lgkmcnt(0)
	s_barrier
	buffer_gl0_inv
	global_load_dwordx4 v[102:105], v[125:126], off offset:1504
	v_add_co_ci_u32_e64 v119, s1, 0, v121, s1
	s_clause 0x3
	global_load_dwordx4 v[106:109], v[100:101], off offset:1120
	global_load_dwordx4 v[110:113], v[110:111], off offset:1696
	;; [unrolled: 1-line block ×4, first 2 shown]
	ds_read_b128 v[131:134], v147
	ds_read_b128 v[135:138], v147 offset:1120
	ds_read_b128 v[139:142], v147 offset:2240
	;; [unrolled: 1-line block ×4, first 2 shown]
	s_waitcnt vmcnt(4) lgkmcnt(4)
	v_mul_f64 v[118:119], v[133:134], v[104:105]
	v_mul_f64 v[104:105], v[131:132], v[104:105]
	s_waitcnt vmcnt(3) lgkmcnt(3)
	v_mul_f64 v[156:157], v[137:138], v[108:109]
	v_mul_f64 v[108:109], v[135:136], v[108:109]
	;; [unrolled: 3-line block ×5, first 2 shown]
	v_fma_f64 v[116:117], v[131:132], v[102:103], -v[118:119]
	v_fma_f64 v[118:119], v[133:134], v[102:103], v[104:105]
	v_fma_f64 v[102:103], v[135:136], v[106:107], -v[156:157]
	v_fma_f64 v[104:105], v[137:138], v[106:107], v[108:109]
	;; [unrolled: 2-line block ×5, first 2 shown]
	ds_write_b128 v147, v[116:119]
	ds_write_b128 v147, v[102:105] offset:1120
	ds_write_b128 v147, v[106:109] offset:2240
	;; [unrolled: 1-line block ×4, first 2 shown]
	s_and_saveexec_b32 s4, vcc_lo
	s_cbranch_execz .LBB0_13
; %bb.12:
	v_add_co_u32 v110, s1, 0x800, v100
	v_add_co_ci_u32_e64 v111, s1, 0, v101, s1
	v_add_co_u32 v118, s1, 0x1000, v100
	global_load_dwordx4 v[102:105], v[100:101], off offset:800
	v_add_co_ci_u32_e64 v119, s1, 0, v101, s1
	s_clause 0x3
	global_load_dwordx4 v[106:109], v[100:101], off offset:1920
	global_load_dwordx4 v[110:113], v[110:111], off offset:992
	global_load_dwordx4 v[114:117], v[118:119], off offset:64
	global_load_dwordx4 v[127:130], v[118:119], off offset:1184
	ds_read_b128 v[131:134], v147 offset:800
	ds_read_b128 v[135:138], v147 offset:1920
	;; [unrolled: 1-line block ×5, first 2 shown]
	s_waitcnt vmcnt(4) lgkmcnt(4)
	v_mul_f64 v[100:101], v[133:134], v[104:105]
	v_mul_f64 v[104:105], v[131:132], v[104:105]
	s_waitcnt vmcnt(3) lgkmcnt(3)
	v_mul_f64 v[118:119], v[137:138], v[108:109]
	v_mul_f64 v[108:109], v[135:136], v[108:109]
	;; [unrolled: 3-line block ×5, first 2 shown]
	v_fma_f64 v[100:101], v[131:132], v[102:103], -v[100:101]
	v_fma_f64 v[102:103], v[133:134], v[102:103], v[104:105]
	v_fma_f64 v[104:105], v[135:136], v[106:107], -v[118:119]
	v_fma_f64 v[106:107], v[137:138], v[106:107], v[108:109]
	;; [unrolled: 2-line block ×5, first 2 shown]
	ds_write_b128 v147, v[100:103] offset:800
	ds_write_b128 v147, v[104:107] offset:1920
	;; [unrolled: 1-line block ×5, first 2 shown]
.LBB0_13:
	s_or_b32 exec_lo, exec_lo, s4
	s_waitcnt lgkmcnt(0)
	s_barrier
	buffer_gl0_inv
	ds_read_b128 v[112:115], v147
	ds_read_b128 v[116:119], v147 offset:1120
	ds_read_b128 v[108:111], v147 offset:2240
	;; [unrolled: 1-line block ×4, first 2 shown]
	s_and_saveexec_b32 s1, vcc_lo
	s_cbranch_execz .LBB0_15
; %bb.14:
	ds_read_b128 v[80:83], v147 offset:800
	ds_read_b128 v[84:87], v147 offset:1920
	;; [unrolled: 1-line block ×5, first 2 shown]
.LBB0_15:
	s_or_b32 exec_lo, exec_lo, s1
	s_waitcnt lgkmcnt(1)
	v_add_f64 v[127:128], v[108:109], v[104:105]
	v_add_f64 v[131:132], v[112:113], v[116:117]
	s_waitcnt lgkmcnt(0)
	v_add_f64 v[129:130], v[116:117], v[100:101]
	v_add_f64 v[137:138], v[110:111], v[106:107]
	v_add_f64 v[141:142], v[118:119], v[102:103]
	v_add_f64 v[145:146], v[88:89], v[92:93]
	v_add_f64 v[152:153], v[84:85], v[96:97]
	v_add_f64 v[160:161], v[90:91], v[94:95]
	v_add_f64 v[162:163], v[86:87], v[98:99]
	v_add_f64 v[133:134], v[118:119], -v[102:103]
	v_add_f64 v[135:136], v[110:111], -v[106:107]
	v_add_f64 v[139:140], v[116:117], -v[108:109]
	v_add_f64 v[154:155], v[108:109], -v[116:117]
	v_add_f64 v[158:159], v[114:115], v[118:119]
	v_add_f64 v[166:167], v[116:117], -v[100:101]
	v_add_f64 v[168:169], v[108:109], -v[104:105]
	;; [unrolled: 1-line block ×6, first 2 shown]
	s_mov_b32 s14, 0x134454ff
	s_mov_b32 s15, 0xbfee6f0e
	v_fma_f64 v[164:165], v[127:128], -0.5, v[112:113]
	v_add_f64 v[108:109], v[131:132], v[108:109]
	v_fma_f64 v[172:173], v[129:130], -0.5, v[112:113]
	v_fma_f64 v[137:138], v[137:138], -0.5, v[114:115]
	v_fma_f64 v[141:142], v[141:142], -0.5, v[114:115]
	v_fma_f64 v[112:113], v[145:146], -0.5, v[80:81]
	v_fma_f64 v[145:146], v[152:153], -0.5, v[80:81]
	v_add_f64 v[129:130], v[84:85], -v[96:97]
	v_add_f64 v[114:115], v[88:89], -v[92:93]
	v_fma_f64 v[127:128], v[160:161], -0.5, v[82:83]
	v_fma_f64 v[131:132], v[162:163], -0.5, v[82:83]
	s_mov_b32 s7, 0x3fee6f0e
	s_mov_b32 s6, s14
	v_add_f64 v[143:144], v[100:101], -v[104:105]
	v_add_f64 v[156:157], v[104:105], -v[100:101]
	;; [unrolled: 1-line block ×9, first 2 shown]
	v_fma_f64 v[152:153], v[133:134], s[14:15], v[164:165]
	v_fma_f64 v[162:163], v[133:134], s[6:7], v[164:165]
	;; [unrolled: 1-line block ×4, first 2 shown]
	v_add_f64 v[110:111], v[158:159], v[110:111]
	v_fma_f64 v[158:159], v[166:167], s[6:7], v[137:138]
	v_add_f64 v[188:189], v[98:99], -v[94:95]
	v_add_f64 v[192:193], v[90:91], -v[86:87]
	;; [unrolled: 1-line block ×3, first 2 shown]
	v_fma_f64 v[196:197], v[116:117], s[6:7], v[112:113]
	v_fma_f64 v[198:199], v[118:119], s[6:7], v[145:146]
	;; [unrolled: 1-line block ×3, first 2 shown]
	v_add_f64 v[104:105], v[108:109], v[104:105]
	v_fma_f64 v[108:109], v[129:130], s[14:15], v[127:128]
	v_fma_f64 v[200:201], v[114:115], s[14:15], v[131:132]
	v_fma_f64 v[202:203], v[114:115], s[6:7], v[131:132]
	v_fma_f64 v[190:191], v[168:169], s[14:15], v[141:142]
	v_fma_f64 v[137:138], v[166:167], s[14:15], v[137:138]
	v_fma_f64 v[141:142], v[168:169], s[6:7], v[141:142]
	s_mov_b32 s12, 0x4755a5e
	s_mov_b32 s13, 0xbfe2cf23
	;; [unrolled: 1-line block ×4, first 2 shown]
	v_add_f64 v[154:155], v[154:155], v[156:157]
	v_fma_f64 v[164:165], v[133:134], s[12:13], v[164:165]
	v_fma_f64 v[156:157], v[133:134], s[4:5], v[172:173]
	v_add_f64 v[106:107], v[110:111], v[106:107]
	v_fma_f64 v[110:111], v[168:169], s[4:5], v[158:159]
	v_add_f64 v[158:159], v[170:171], v[174:175]
	v_add_f64 v[172:173], v[176:177], v[178:179]
	;; [unrolled: 1-line block ×3, first 2 shown]
	v_fma_f64 v[174:175], v[118:119], s[4:5], v[196:197]
	v_fma_f64 v[176:177], v[116:117], s[12:13], v[198:199]
	v_add_f64 v[160:161], v[184:185], v[160:161]
	v_fma_f64 v[178:179], v[116:117], s[4:5], v[145:146]
	v_add_f64 v[133:134], v[186:187], v[188:189]
	v_fma_f64 v[180:181], v[114:115], s[12:13], v[108:109]
	v_fma_f64 v[182:183], v[129:130], s[4:5], v[200:201]
	v_add_f64 v[184:185], v[192:193], v[194:195]
	v_fma_f64 v[186:187], v[129:130], s[12:13], v[202:203]
	;; [unrolled: 3-line block ×3, first 2 shown]
	v_fma_f64 v[168:169], v[168:169], s[12:13], v[137:138]
	v_fma_f64 v[166:167], v[166:167], s[12:13], v[141:142]
	;; [unrolled: 1-line block ×3, first 2 shown]
	s_mov_b32 s12, 0x372fe950
	s_mov_b32 s13, 0x3fd3c6ef
	v_add_f64 v[135:136], v[104:105], v[100:101]
	v_add_f64 v[137:138], v[106:107], v[102:103]
	v_fma_f64 v[141:142], v[158:159], s[12:13], v[110:111]
	v_fma_f64 v[156:157], v[154:155], s[12:13], v[156:157]
	;; [unrolled: 1-line block ×3, first 2 shown]
	s_barrier
	v_fma_f64 v[104:105], v[160:161], s[12:13], v[176:177]
	v_fma_f64 v[100:101], v[160:161], s[12:13], v[178:179]
	buffer_gl0_inv
	v_fma_f64 v[110:111], v[133:134], s[12:13], v[180:181]
	v_fma_f64 v[106:107], v[184:185], s[12:13], v[182:183]
	;; [unrolled: 1-line block ×9, first 2 shown]
	ds_write_b128 v150, v[135:138]
	ds_write_b128 v150, v[139:142] offset:16
	ds_write_b128 v150, v[152:155] offset:32
	;; [unrolled: 1-line block ×4, first 2 shown]
	s_and_saveexec_b32 s1, vcc_lo
	s_cbranch_execz .LBB0_17
; %bb.16:
	v_add_f64 v[82:83], v[82:83], v[86:87]
	v_add_f64 v[80:81], v[80:81], v[84:85]
	v_mul_f64 v[129:130], v[129:130], s[6:7]
	v_mul_f64 v[84:85], v[116:117], s[6:7]
	;; [unrolled: 1-line block ×4, first 2 shown]
	v_add_f64 v[82:83], v[82:83], v[90:91]
	v_add_f64 v[80:81], v[80:81], v[88:89]
	;; [unrolled: 1-line block ×3, first 2 shown]
	v_add_f64 v[84:85], v[112:113], -v[84:85]
	v_mul_f64 v[88:89], v[131:132], s[12:13]
	v_mul_f64 v[90:91], v[133:134], s[12:13]
	v_add_f64 v[94:95], v[82:83], v[94:95]
	v_add_f64 v[80:81], v[80:81], v[92:93]
	;; [unrolled: 1-line block ×3, first 2 shown]
	v_add_f64 v[92:93], v[84:85], -v[86:87]
	v_add_f64 v[86:87], v[94:95], v[98:99]
	v_add_f64 v[84:85], v[80:81], v[96:97]
	;; [unrolled: 1-line block ×4, first 2 shown]
	v_lshlrev_b32_e32 v88, 4, v149
	ds_write_b128 v88, v[104:107] offset:32
	ds_write_b128 v88, v[100:103] offset:48
	ds_write_b128 v88, v[84:87]
	ds_write_b128 v88, v[80:83] offset:16
	ds_write_b128 v88, v[108:111] offset:64
.LBB0_17:
	s_or_b32 exec_lo, exec_lo, s1
	s_waitcnt lgkmcnt(0)
	s_barrier
	buffer_gl0_inv
	ds_read_b128 v[80:83], v147 offset:800
	ds_read_b128 v[84:87], v147 offset:1600
	;; [unrolled: 1-line block ×6, first 2 shown]
	s_mov_b32 s4, 0x37e14327
	s_mov_b32 s5, 0x3fe948f6
	;; [unrolled: 1-line block ×10, first 2 shown]
	s_waitcnt lgkmcnt(5)
	v_mul_f64 v[116:117], v[26:27], v[82:83]
	v_mul_f64 v[26:27], v[26:27], v[80:81]
	s_waitcnt lgkmcnt(4)
	v_mul_f64 v[118:119], v[22:23], v[86:87]
	v_mul_f64 v[22:23], v[22:23], v[84:85]
	;; [unrolled: 3-line block ×6, first 2 shown]
	v_fma_f64 v[80:81], v[24:25], v[80:81], v[116:117]
	v_fma_f64 v[24:25], v[24:25], v[82:83], -v[26:27]
	v_fma_f64 v[26:27], v[20:21], v[84:85], v[118:119]
	v_fma_f64 v[20:21], v[20:21], v[86:87], -v[22:23]
	;; [unrolled: 2-line block ×6, first 2 shown]
	v_add_f64 v[38:39], v[80:81], v[22:23]
	v_add_f64 v[82:83], v[24:25], v[32:33]
	;; [unrolled: 1-line block ×4, first 2 shown]
	v_add_f64 v[26:27], v[26:27], -v[34:35]
	v_add_f64 v[34:35], v[20:21], -v[44:45]
	v_add_f64 v[88:89], v[46:47], v[42:43]
	v_add_f64 v[90:91], v[40:41], v[36:37]
	v_add_f64 v[42:43], v[42:43], -v[46:47]
	v_add_f64 v[36:37], v[36:37], -v[40:41]
	;; [unrolled: 1-line block ×4, first 2 shown]
	ds_read_b128 v[20:23], v147
	s_waitcnt lgkmcnt(0)
	s_barrier
	buffer_gl0_inv
	v_add_f64 v[32:33], v[84:85], v[38:39]
	v_add_f64 v[44:45], v[86:87], v[82:83]
	v_add_f64 v[46:47], v[38:39], -v[88:89]
	v_add_f64 v[80:81], v[82:83], -v[90:91]
	;; [unrolled: 1-line block ×10, first 2 shown]
	v_add_f64 v[26:27], v[42:43], v[26:27]
	v_add_f64 v[34:35], v[36:37], v[34:35]
	v_add_f64 v[42:43], v[40:41], -v[42:43]
	v_add_f64 v[36:37], v[24:25], -v[36:37]
	v_add_f64 v[32:33], v[88:89], v[32:33]
	v_add_f64 v[44:45], v[90:91], v[44:45]
	v_mul_f64 v[46:47], v[46:47], s[4:5]
	v_mul_f64 v[80:81], v[80:81], s[4:5]
	s_mov_b32 s4, 0x429ad128
	v_mul_f64 v[84:85], v[92:93], s[6:7]
	v_mul_f64 v[86:87], v[94:95], s[6:7]
	;; [unrolled: 1-line block ×4, first 2 shown]
	s_mov_b32 s5, 0xbfebfeb5
	s_mov_b32 s12, 0xaaaaaaaa
	v_mul_f64 v[96:97], v[112:113], s[4:5]
	v_mul_f64 v[98:99], v[114:115], s[4:5]
	s_mov_b32 s13, 0xbff2aaaa
	v_add_f64 v[26:27], v[26:27], v[40:41]
	v_add_f64 v[24:25], v[34:35], v[24:25]
	;; [unrolled: 1-line block ×4, first 2 shown]
	v_fma_f64 v[34:35], v[92:93], s[6:7], v[46:47]
	v_fma_f64 v[40:41], v[94:95], s[6:7], v[80:81]
	v_fma_f64 v[84:85], v[38:39], s[14:15], -v[84:85]
	v_fma_f64 v[86:87], v[82:83], s[14:15], -v[86:87]
	s_mov_b32 s15, 0xbfe77f67
	v_fma_f64 v[92:93], v[42:43], s[16:17], v[88:89]
	v_fma_f64 v[94:95], v[36:37], s[16:17], v[90:91]
	s_mov_b32 s17, 0x3fd5d0dc
	v_fma_f64 v[88:89], v[112:113], s[4:5], -v[88:89]
	v_fma_f64 v[90:91], v[114:115], s[4:5], -v[90:91]
	;; [unrolled: 1-line block ×6, first 2 shown]
	s_mov_b32 s4, 0x37c3f68c
	s_mov_b32 s5, 0xbfdc38aa
	v_fma_f64 v[32:33], v[32:33], s[12:13], v[20:21]
	v_fma_f64 v[44:45], v[44:45], s[12:13], v[22:23]
	;; [unrolled: 1-line block ×8, first 2 shown]
	v_add_f64 v[96:97], v[34:35], v[32:33]
	v_add_f64 v[98:99], v[40:41], v[44:45]
	;; [unrolled: 1-line block ×7, first 2 shown]
	v_add_f64 v[26:27], v[98:99], -v[92:93]
	v_add_f64 v[36:37], v[90:91], v[112:113]
	v_add_f64 v[38:39], v[46:47], -v[88:89]
	v_add_f64 v[40:41], v[32:33], -v[82:83]
	v_add_f64 v[42:43], v[80:81], v[34:35]
	v_add_f64 v[32:33], v[82:83], v[32:33]
	v_add_f64 v[34:35], v[34:35], -v[80:81]
	v_add_f64 v[80:81], v[112:113], -v[90:91]
	v_add_f64 v[82:83], v[88:89], v[46:47]
	v_add_f64 v[44:45], v[96:97], -v[94:95]
	v_add_f64 v[46:47], v[92:93], v[98:99]
	ds_write_b128 v151, v[20:23]
	ds_write_b128 v151, v[24:27] offset:80
	ds_write_b128 v151, v[36:39] offset:160
	;; [unrolled: 1-line block ×6, first 2 shown]
	s_waitcnt lgkmcnt(0)
	s_barrier
	buffer_gl0_inv
	s_and_saveexec_b32 s1, s0
	s_cbranch_execz .LBB0_19
; %bb.18:
	ds_read_b128 v[20:23], v147
	ds_read_b128 v[24:27], v147 offset:560
	ds_read_b128 v[36:39], v147 offset:1120
	;; [unrolled: 1-line block ×9, first 2 shown]
.LBB0_19:
	s_or_b32 exec_lo, exec_lo, s1
	s_and_saveexec_b32 s22, s0
	s_cbranch_execz .LBB0_21
; %bb.20:
	s_waitcnt lgkmcnt(6)
	v_mul_f64 v[84:85], v[66:67], v[40:41]
	s_waitcnt lgkmcnt(4)
	v_mul_f64 v[86:87], v[58:59], v[80:81]
	;; [unrolled: 2-line block ×4, first 2 shown]
	v_mul_f64 v[66:67], v[66:67], v[42:43]
	v_mul_f64 v[58:59], v[58:59], v[82:83]
	;; [unrolled: 1-line block ×14, first 2 shown]
	s_mov_b32 s4, 0x134454ff
	s_mov_b32 s5, 0xbfee6f0e
	;; [unrolled: 1-line block ×4, first 2 shown]
	v_fma_f64 v[42:43], v[64:65], v[42:43], -v[84:85]
	v_fma_f64 v[82:83], v[56:57], v[82:83], -v[86:87]
	;; [unrolled: 1-line block ×4, first 2 shown]
	v_fma_f64 v[40:41], v[64:65], v[40:41], v[66:67]
	v_fma_f64 v[56:57], v[56:57], v[80:81], v[58:59]
	s_mov_b32 s6, 0x4755a5e
	v_fma_f64 v[58:59], v[60:61], v[104:105], v[62:63]
	v_fma_f64 v[60:61], v[72:73], v[108:109], v[74:75]
	v_fma_f64 v[26:27], v[28:29], v[26:27], -v[112:113]
	v_fma_f64 v[38:39], v[76:77], v[38:39], -v[92:93]
	;; [unrolled: 1-line block ×5, first 2 shown]
	v_fma_f64 v[36:37], v[76:77], v[36:37], v[78:79]
	v_fma_f64 v[66:67], v[68:69], v[100:101], v[70:71]
	;; [unrolled: 1-line block ×5, first 2 shown]
	s_mov_b32 s7, 0xbfe2cf23
	s_mov_b32 s19, 0x3fe2cf23
	;; [unrolled: 1-line block ×4, first 2 shown]
	v_add_f64 v[90:91], v[42:43], -v[82:83]
	v_add_f64 v[62:63], v[82:83], v[84:85]
	v_add_f64 v[64:65], v[42:43], v[86:87]
	v_add_f64 v[78:79], v[42:43], -v[86:87]
	v_add_f64 v[80:81], v[82:83], -v[84:85]
	;; [unrolled: 1-line block ×3, first 2 shown]
	v_add_f64 v[48:49], v[56:57], v[58:59]
	v_add_f64 v[50:51], v[40:41], v[60:61]
	v_add_f64 v[52:53], v[40:41], -v[60:61]
	v_add_f64 v[54:55], v[56:57], -v[58:59]
	v_add_f64 v[104:105], v[82:83], -v[42:43]
	v_add_f64 v[98:99], v[38:39], v[88:89]
	v_add_f64 v[68:69], v[34:35], v[46:47]
	v_add_f64 v[106:107], v[84:85], -v[86:87]
	v_add_f64 v[114:115], v[36:37], v[66:67]
	v_add_f64 v[70:71], v[36:37], -v[66:67]
	v_add_f64 v[112:113], v[32:33], v[44:45]
	v_add_f64 v[108:109], v[22:23], v[38:39]
	v_add_f64 v[116:117], v[36:37], -v[32:33]
	v_add_f64 v[129:130], v[32:33], -v[36:37]
	v_add_f64 v[36:37], v[20:21], v[36:37]
	v_add_f64 v[28:29], v[38:39], -v[34:35]
	v_add_f64 v[30:31], v[88:89], -v[46:47]
	v_fma_f64 v[62:63], v[62:63], -0.5, v[26:27]
	v_fma_f64 v[64:65], v[64:65], -0.5, v[26:27]
	v_add_f64 v[26:27], v[26:27], v[42:43]
	v_add_f64 v[72:73], v[32:33], -v[44:45]
	v_add_f64 v[74:75], v[40:41], -v[56:57]
	v_fma_f64 v[48:49], v[48:49], -0.5, v[24:25]
	v_fma_f64 v[50:51], v[50:51], -0.5, v[24:25]
	v_add_f64 v[24:25], v[24:25], v[40:41]
	v_add_f64 v[76:77], v[60:61], -v[58:59]
	v_add_f64 v[94:95], v[34:35], -v[38:39]
	;; [unrolled: 1-line block ×6, first 2 shown]
	v_fma_f64 v[40:41], v[68:69], -0.5, v[22:23]
	v_fma_f64 v[22:23], v[98:99], -0.5, v[22:23]
	v_add_f64 v[68:69], v[90:91], v[92:93]
	v_add_f64 v[90:91], v[104:105], v[106:107]
	s_mov_b32 s1, 0x3fd3c6ef
	v_add_f64 v[34:35], v[108:109], v[34:35]
	v_add_f64 v[32:33], v[36:37], v[32:33]
	v_add_f64 v[96:97], v[46:47], -v[88:89]
	v_fma_f64 v[42:43], v[52:53], s[4:5], v[62:63]
	v_fma_f64 v[110:111], v[54:55], s[16:17], v[64:65]
	;; [unrolled: 1-line block ×4, first 2 shown]
	v_add_f64 v[26:27], v[26:27], v[82:83]
	v_fma_f64 v[92:93], v[78:79], s[16:17], v[48:49]
	v_fma_f64 v[98:99], v[80:81], s[4:5], v[50:51]
	;; [unrolled: 1-line block ×4, first 2 shown]
	v_add_f64 v[24:25], v[24:25], v[56:57]
	v_add_f64 v[118:119], v[66:67], -v[44:45]
	v_add_f64 v[131:132], v[44:45], -v[66:67]
	v_add_f64 v[28:29], v[28:29], v[30:31]
	v_add_f64 v[30:31], v[74:75], v[76:77]
	;; [unrolled: 1-line block ×3, first 2 shown]
	v_fma_f64 v[36:37], v[70:71], s[4:5], v[40:41]
	v_fma_f64 v[56:57], v[72:73], s[16:17], v[22:23]
	;; [unrolled: 1-line block ×4, first 2 shown]
	s_mov_b32 s12, 0x9b97f4a8
	s_mov_b32 s13, 0xbfe9e377
	;; [unrolled: 1-line block ×3, first 2 shown]
	v_fma_f64 v[42:43], v[54:55], s[6:7], v[42:43]
	v_fma_f64 v[104:105], v[52:53], s[6:7], v[110:111]
	;; [unrolled: 1-line block ×4, first 2 shown]
	v_fma_f64 v[62:63], v[112:113], -0.5, v[20:21]
	v_fma_f64 v[20:21], v[114:115], -0.5, v[20:21]
	v_fma_f64 v[76:77], v[80:81], s[18:19], v[92:93]
	v_fma_f64 v[82:83], v[78:79], s[18:19], v[98:99]
	;; [unrolled: 1-line block ×4, first 2 shown]
	s_mov_b32 s21, 0x3fe9e377
	s_mov_b32 s14, s0
	;; [unrolled: 1-line block ×3, first 2 shown]
	v_add_f64 v[34:35], v[34:35], v[46:47]
	v_add_f64 v[26:27], v[26:27], v[84:85]
	;; [unrolled: 1-line block ×6, first 2 shown]
	v_fma_f64 v[36:37], v[72:73], s[6:7], v[36:37]
	v_fma_f64 v[44:45], v[70:71], s[6:7], v[56:57]
	;; [unrolled: 1-line block ×11, first 2 shown]
	v_add_f64 v[90:91], v[116:117], v[118:119]
	v_fma_f64 v[40:41], v[72:73], s[18:19], v[40:41]
	v_fma_f64 v[46:47], v[30:31], s[0:1], v[76:77]
	;; [unrolled: 1-line block ×5, first 2 shown]
	v_add_f64 v[34:35], v[34:35], v[88:89]
	v_add_f64 v[26:27], v[26:27], v[86:87]
	;; [unrolled: 1-line block ×4, first 2 shown]
	v_fma_f64 v[36:37], v[28:29], s[0:1], v[36:37]
	v_fma_f64 v[44:45], v[64:65], s[0:1], v[44:45]
	;; [unrolled: 1-line block ×3, first 2 shown]
	v_mul_f64 v[48:49], v[42:43], s[12:13]
	v_mul_f64 v[58:59], v[78:79], s[14:15]
	;; [unrolled: 1-line block ×4, first 2 shown]
	v_fma_f64 v[68:69], v[127:128], s[18:19], v[68:69]
	v_fma_f64 v[74:75], v[38:39], s[18:19], v[80:81]
	v_fma_f64 v[20:21], v[38:39], s[6:7], v[20:21]
	v_fma_f64 v[38:39], v[127:128], s[6:7], v[62:63]
	v_mul_f64 v[54:55], v[54:55], s[6:7]
	v_mul_f64 v[52:53], v[52:53], s[4:5]
	;; [unrolled: 1-line block ×4, first 2 shown]
	v_fma_f64 v[28:29], v[28:29], s[0:1], v[40:41]
	v_add_f64 v[22:23], v[34:35], -v[26:27]
	v_add_f64 v[26:27], v[34:35], v[26:27]
	v_fma_f64 v[40:41], v[46:47], s[18:19], v[48:49]
	v_fma_f64 v[48:49], v[56:57], s[16:17], v[58:59]
	;; [unrolled: 1-line block ×12, first 2 shown]
	v_add_f64 v[20:21], v[32:33], -v[24:25]
	v_add_f64 v[24:25], v[32:33], v[24:25]
	v_add_f64 v[46:47], v[36:37], v[40:41]
	v_add_f64 v[34:35], v[44:45], -v[48:49]
	v_add_f64 v[38:39], v[60:61], -v[58:59]
	v_add_f64 v[54:55], v[60:61], v[58:59]
	v_add_f64 v[58:59], v[28:29], v[64:65]
	;; [unrolled: 1-line block ×3, first 2 shown]
	v_add_f64 v[30:31], v[36:37], -v[40:41]
	v_add_f64 v[42:43], v[28:29], -v[64:65]
	v_add_f64 v[56:57], v[72:73], v[74:75]
	v_add_f64 v[52:53], v[70:71], v[76:77]
	;; [unrolled: 1-line block ×4, first 2 shown]
	v_add_f64 v[40:41], v[72:73], -v[74:75]
	v_add_f64 v[36:37], v[70:71], -v[76:77]
	v_add_f64 v[32:33], v[68:69], -v[62:63]
	v_add_f64 v[28:29], v[66:67], -v[78:79]
	ds_write_b128 v147, v[24:27]
	ds_write_b128 v147, v[20:23] offset:2800
	ds_write_b128 v147, v[56:59] offset:560
	ds_write_b128 v147, v[52:55] offset:1120
	ds_write_b128 v147, v[48:51] offset:1680
	ds_write_b128 v147, v[44:47] offset:2240
	ds_write_b128 v147, v[40:43] offset:3360
	ds_write_b128 v147, v[36:39] offset:3920
	ds_write_b128 v147, v[32:35] offset:4480
	ds_write_b128 v147, v[28:31] offset:5040
.LBB0_21:
	s_or_b32 exec_lo, exec_lo, s22
	s_waitcnt lgkmcnt(0)
	s_barrier
	buffer_gl0_inv
	ds_read_b128 v[20:23], v147
	ds_read_b128 v[24:27], v147 offset:1120
	ds_read_b128 v[28:31], v147 offset:2240
	;; [unrolled: 1-line block ×4, first 2 shown]
	v_mad_u64_u32 v[40:41], null, s10, v124, 0
	v_mad_u64_u32 v[42:43], null, s8, v148, 0
	s_mul_i32 s0, s9, 0x46
	s_mul_hi_u32 s1, s8, 0x46
	s_mul_i32 s6, s8, 0x46
	s_add_i32 s7, s1, s0
	s_mov_b32 s4, 0xe434a9b1
	s_mov_b32 s5, 0x3f6767dc
	v_mad_u64_u32 v[44:45], null, s11, v124, v[41:42]
	s_waitcnt lgkmcnt(4)
	v_mul_f64 v[45:46], v[2:3], v[22:23]
	v_mul_f64 v[2:3], v[2:3], v[20:21]
	s_waitcnt lgkmcnt(3)
	v_mul_f64 v[47:48], v[6:7], v[26:27]
	v_mul_f64 v[6:7], v[6:7], v[24:25]
	;; [unrolled: 3-line block ×5, first 2 shown]
	v_mad_u64_u32 v[55:56], null, s9, v148, v[43:44]
	v_mov_b32_e32 v41, v44
	v_lshlrev_b64 v[40:41], 4, v[40:41]
	v_mov_b32_e32 v43, v55
	v_fma_f64 v[20:21], v[0:1], v[20:21], v[45:46]
	v_fma_f64 v[0:1], v[0:1], v[22:23], -v[2:3]
	v_fma_f64 v[22:23], v[4:5], v[24:25], v[47:48]
	v_fma_f64 v[24:25], v[4:5], v[26:27], -v[6:7]
	v_fma_f64 v[26:27], v[12:13], v[28:29], v[49:50]
	v_fma_f64 v[12:13], v[12:13], v[30:31], -v[14:15]
	v_fma_f64 v[14:15], v[8:9], v[32:33], v[51:52]
	v_fma_f64 v[28:29], v[8:9], v[34:35], -v[10:11]
	v_fma_f64 v[30:31], v[16:17], v[36:37], v[53:54]
	v_fma_f64 v[32:33], v[16:17], v[38:39], -v[18:19]
	v_lshlrev_b64 v[2:3], 4, v[42:43]
	v_add_co_u32 v4, s0, s2, v40
	v_add_co_ci_u32_e64 v5, s0, s3, v41, s0
	s_lshl_b64 s[2:3], s[6:7], 4
	v_add_co_u32 v34, s0, v4, v2
	v_add_co_ci_u32_e64 v35, s0, v5, v3, s0
	v_mul_f64 v[2:3], v[20:21], s[4:5]
	v_mul_f64 v[4:5], v[0:1], s[4:5]
	;; [unrolled: 1-line block ×3, first 2 shown]
	v_add_co_u32 v22, s0, v34, s2
	v_mul_f64 v[8:9], v[24:25], s[4:5]
	v_mul_f64 v[10:11], v[26:27], s[4:5]
	;; [unrolled: 1-line block ×3, first 2 shown]
	v_add_co_ci_u32_e64 v23, s0, s3, v35, s0
	v_mul_f64 v[14:15], v[14:15], s[4:5]
	v_mul_f64 v[16:17], v[28:29], s[4:5]
	;; [unrolled: 1-line block ×4, first 2 shown]
	v_add_co_u32 v24, s0, v22, s2
	v_add_co_ci_u32_e64 v25, s0, s3, v23, s0
	v_add_co_u32 v26, s0, v24, s2
	v_add_co_ci_u32_e64 v27, s0, s3, v25, s0
	;; [unrolled: 2-line block ×3, first 2 shown]
	global_store_dwordx4 v[34:35], v[2:5], off
	global_store_dwordx4 v[22:23], v[6:9], off
	;; [unrolled: 1-line block ×5, first 2 shown]
	s_and_b32 exec_lo, exec_lo, vcc_lo
	s_cbranch_execz .LBB0_23
; %bb.22:
	s_clause 0x4
	global_load_dwordx4 v[2:5], v[120:121], off offset:800
	global_load_dwordx4 v[6:9], v[120:121], off offset:1920
	;; [unrolled: 1-line block ×5, first 2 shown]
	ds_read_b128 v[22:25], v147 offset:800
	ds_read_b128 v[26:29], v147 offset:1920
	ds_read_b128 v[30:33], v147 offset:3040
	ds_read_b128 v[34:37], v147 offset:4160
	ds_read_b128 v[38:41], v147 offset:5280
	s_mul_i32 s0, s9, 0xfffff1a0
	s_sub_i32 s0, s0, s8
	s_waitcnt vmcnt(4) lgkmcnt(4)
	v_mul_f64 v[42:43], v[24:25], v[4:5]
	v_mul_f64 v[4:5], v[22:23], v[4:5]
	s_waitcnt vmcnt(3) lgkmcnt(3)
	v_mul_f64 v[44:45], v[28:29], v[8:9]
	v_mul_f64 v[8:9], v[26:27], v[8:9]
	;; [unrolled: 3-line block ×5, first 2 shown]
	v_fma_f64 v[22:23], v[22:23], v[2:3], v[42:43]
	v_fma_f64 v[2:3], v[2:3], v[24:25], -v[4:5]
	v_fma_f64 v[4:5], v[26:27], v[6:7], v[44:45]
	v_fma_f64 v[6:7], v[6:7], v[28:29], -v[8:9]
	;; [unrolled: 2-line block ×5, first 2 shown]
	v_mad_u64_u32 v[20:21], null, 0xfffff1a0, s8, v[0:1]
	v_add_nc_u32_e32 v21, s0, v21
	v_mul_f64 v[0:1], v[22:23], s[4:5]
	v_mul_f64 v[2:3], v[2:3], s[4:5]
	;; [unrolled: 1-line block ×10, first 2 shown]
	v_add_co_u32 v22, vcc_lo, v20, s2
	v_add_co_ci_u32_e32 v23, vcc_lo, s3, v21, vcc_lo
	v_add_co_u32 v24, vcc_lo, v22, s2
	v_add_co_ci_u32_e32 v25, vcc_lo, s3, v23, vcc_lo
	;; [unrolled: 2-line block ×4, first 2 shown]
	global_store_dwordx4 v[20:21], v[0:3], off
	global_store_dwordx4 v[22:23], v[4:7], off
	;; [unrolled: 1-line block ×5, first 2 shown]
.LBB0_23:
	s_endpgm
	.section	.rodata,"a",@progbits
	.p2align	6, 0x0
	.amdhsa_kernel bluestein_single_back_len350_dim1_dp_op_CI_CI
		.amdhsa_group_segment_fixed_size 5600
		.amdhsa_private_segment_fixed_size 0
		.amdhsa_kernarg_size 104
		.amdhsa_user_sgpr_count 6
		.amdhsa_user_sgpr_private_segment_buffer 1
		.amdhsa_user_sgpr_dispatch_ptr 0
		.amdhsa_user_sgpr_queue_ptr 0
		.amdhsa_user_sgpr_kernarg_segment_ptr 1
		.amdhsa_user_sgpr_dispatch_id 0
		.amdhsa_user_sgpr_flat_scratch_init 0
		.amdhsa_user_sgpr_private_segment_size 0
		.amdhsa_wavefront_size32 1
		.amdhsa_uses_dynamic_stack 0
		.amdhsa_system_sgpr_private_segment_wavefront_offset 0
		.amdhsa_system_sgpr_workgroup_id_x 1
		.amdhsa_system_sgpr_workgroup_id_y 0
		.amdhsa_system_sgpr_workgroup_id_z 0
		.amdhsa_system_sgpr_workgroup_info 0
		.amdhsa_system_vgpr_workitem_id 0
		.amdhsa_next_free_vgpr 204
		.amdhsa_next_free_sgpr 23
		.amdhsa_reserve_vcc 1
		.amdhsa_reserve_flat_scratch 0
		.amdhsa_float_round_mode_32 0
		.amdhsa_float_round_mode_16_64 0
		.amdhsa_float_denorm_mode_32 3
		.amdhsa_float_denorm_mode_16_64 3
		.amdhsa_dx10_clamp 1
		.amdhsa_ieee_mode 1
		.amdhsa_fp16_overflow 0
		.amdhsa_workgroup_processor_mode 1
		.amdhsa_memory_ordered 1
		.amdhsa_forward_progress 0
		.amdhsa_shared_vgpr_count 0
		.amdhsa_exception_fp_ieee_invalid_op 0
		.amdhsa_exception_fp_denorm_src 0
		.amdhsa_exception_fp_ieee_div_zero 0
		.amdhsa_exception_fp_ieee_overflow 0
		.amdhsa_exception_fp_ieee_underflow 0
		.amdhsa_exception_fp_ieee_inexact 0
		.amdhsa_exception_int_div_zero 0
	.end_amdhsa_kernel
	.text
.Lfunc_end0:
	.size	bluestein_single_back_len350_dim1_dp_op_CI_CI, .Lfunc_end0-bluestein_single_back_len350_dim1_dp_op_CI_CI
                                        ; -- End function
	.section	.AMDGPU.csdata,"",@progbits
; Kernel info:
; codeLenInByte = 11492
; NumSgprs: 25
; NumVgprs: 204
; ScratchSize: 0
; MemoryBound: 0
; FloatMode: 240
; IeeeMode: 1
; LDSByteSize: 5600 bytes/workgroup (compile time only)
; SGPRBlocks: 3
; VGPRBlocks: 25
; NumSGPRsForWavesPerEU: 25
; NumVGPRsForWavesPerEU: 204
; Occupancy: 4
; WaveLimiterHint : 1
; COMPUTE_PGM_RSRC2:SCRATCH_EN: 0
; COMPUTE_PGM_RSRC2:USER_SGPR: 6
; COMPUTE_PGM_RSRC2:TRAP_HANDLER: 0
; COMPUTE_PGM_RSRC2:TGID_X_EN: 1
; COMPUTE_PGM_RSRC2:TGID_Y_EN: 0
; COMPUTE_PGM_RSRC2:TGID_Z_EN: 0
; COMPUTE_PGM_RSRC2:TIDIG_COMP_CNT: 0
	.text
	.p2alignl 6, 3214868480
	.fill 48, 4, 3214868480
	.type	__hip_cuid_13487e7287de5aa,@object ; @__hip_cuid_13487e7287de5aa
	.section	.bss,"aw",@nobits
	.globl	__hip_cuid_13487e7287de5aa
__hip_cuid_13487e7287de5aa:
	.byte	0                               ; 0x0
	.size	__hip_cuid_13487e7287de5aa, 1

	.ident	"AMD clang version 19.0.0git (https://github.com/RadeonOpenCompute/llvm-project roc-6.4.0 25133 c7fe45cf4b819c5991fe208aaa96edf142730f1d)"
	.section	".note.GNU-stack","",@progbits
	.addrsig
	.addrsig_sym __hip_cuid_13487e7287de5aa
	.amdgpu_metadata
---
amdhsa.kernels:
  - .args:
      - .actual_access:  read_only
        .address_space:  global
        .offset:         0
        .size:           8
        .value_kind:     global_buffer
      - .actual_access:  read_only
        .address_space:  global
        .offset:         8
        .size:           8
        .value_kind:     global_buffer
      - .actual_access:  read_only
        .address_space:  global
        .offset:         16
        .size:           8
        .value_kind:     global_buffer
      - .actual_access:  read_only
        .address_space:  global
        .offset:         24
        .size:           8
        .value_kind:     global_buffer
      - .actual_access:  read_only
        .address_space:  global
        .offset:         32
        .size:           8
        .value_kind:     global_buffer
      - .offset:         40
        .size:           8
        .value_kind:     by_value
      - .address_space:  global
        .offset:         48
        .size:           8
        .value_kind:     global_buffer
      - .address_space:  global
        .offset:         56
        .size:           8
        .value_kind:     global_buffer
      - .address_space:  global
        .offset:         64
        .size:           8
        .value_kind:     global_buffer
      - .address_space:  global
        .offset:         72
        .size:           8
        .value_kind:     global_buffer
      - .offset:         80
        .size:           4
        .value_kind:     by_value
      - .address_space:  global
        .offset:         88
        .size:           8
        .value_kind:     global_buffer
      - .address_space:  global
        .offset:         96
        .size:           8
        .value_kind:     global_buffer
    .group_segment_fixed_size: 5600
    .kernarg_segment_align: 8
    .kernarg_segment_size: 104
    .language:       OpenCL C
    .language_version:
      - 2
      - 0
    .max_flat_workgroup_size: 50
    .name:           bluestein_single_back_len350_dim1_dp_op_CI_CI
    .private_segment_fixed_size: 0
    .sgpr_count:     25
    .sgpr_spill_count: 0
    .symbol:         bluestein_single_back_len350_dim1_dp_op_CI_CI.kd
    .uniform_work_group_size: 1
    .uses_dynamic_stack: false
    .vgpr_count:     204
    .vgpr_spill_count: 0
    .wavefront_size: 32
    .workgroup_processor_mode: 1
amdhsa.target:   amdgcn-amd-amdhsa--gfx1030
amdhsa.version:
  - 1
  - 2
...

	.end_amdgpu_metadata
